;; amdgpu-corpus repo=ROCm/bitsandbytes kind=harvested arch=n/a opt=n/a
	.text
	.amdgcn_target "amdgcn-amd-amdhsa--gfx1100"
	.amdhsa_code_object_version 6
	.protected	_Z9kQuantizePfS_Phi     ; -- Begin function _Z9kQuantizePfS_Phi
	.globl	_Z9kQuantizePfS_Phi
	.p2align	8
	.type	_Z9kQuantizePfS_Phi,@function
_Z9kQuantizePfS_Phi:                    ; @_Z9kQuantizePfS_Phi
; %bb.0:
	v_lshlrev_b32_e32 v1, 2, v0
	s_mov_b32 s2, exec_lo
	v_cmpx_gt_u32_e32 0x100, v0
	s_cbranch_execz .LBB0_2
; %bb.1:
	s_load_b64 s[4:5], s[0:1], 0x0
	s_waitcnt lgkmcnt(0)
	global_load_b32 v2, v1, s[4:5]
	s_waitcnt vmcnt(0)
	ds_store_b32 v1, v2 offset:21120
.LBB0_2:
	s_or_b32 exec_lo, exec_lo, s2
	s_load_b32 s2, s[0:1], 0x18
	s_mov_b32 s9, 0
	s_waitcnt lgkmcnt(0)
	s_ashr_i32 s3, s2, 31
	s_and_b32 s4, s2, 0xfff
	s_lshr_b32 s3, s3, 20
	s_delay_alu instid0(SALU_CYCLE_1) | instskip(NEXT) | instid1(SALU_CYCLE_1)
	s_add_i32 s3, s2, s3
	s_and_b32 s3, s3, 0xfffff000
	s_cmp_lg_u32 s4, 0
	s_cselect_b32 s4, -1, 0
	s_lshl_b32 s8, s15, 12
	v_cndmask_b32_e64 v2, 0, 1, s4
	s_delay_alu instid0(VALU_DEP_1) | instskip(NEXT) | instid1(VALU_DEP_1)
	v_readfirstlane_b32 s4, v2
	s_lshl_b32 s10, s4, 12
	s_delay_alu instid0(SALU_CYCLE_1) | instskip(NEXT) | instid1(SALU_CYCLE_1)
	s_add_i32 s10, s10, s3
	s_cmp_ge_u32 s8, s10
	s_cbranch_scc1 .LBB0_61
; %bb.3:
	s_load_b128 s[4:7], s[0:1], 0x8
	v_mbcnt_lo_u32_b32 v2, -1, 0
	v_dual_mov_b32 v24, 0 :: v_dual_and_b32 v1, 0xf80, v1
	s_load_b32 s0, s[0:1], 0x20
	v_mov_b32_e32 v26, 0xff
	s_delay_alu instid0(VALU_DEP_3) | instskip(NEXT) | instid1(VALU_DEP_3)
	v_lshlrev_b32_e32 v4, 2, v2
	v_or_b32_e32 v6, v2, v1
	v_lshrrev_b32_e32 v3, 5, v1
	v_and_or_b32 v0, 0x3e0, v0, v2
	v_lshlrev_b32_e32 v5, 2, v1
	v_add_nc_u32_e64 v25, 0x5200, 0
	v_or_b32_e32 v8, 32, v6
	v_add_nc_u32_e32 v7, v3, v6
	v_or_b32_e32 v9, 64, v6
	v_or_b32_e32 v10, 0x60, v6
	v_bfe_u32 v3, v0, 3, 27
	v_lshrrev_b32_e32 v16, 5, v8
	v_lshlrev_b32_e32 v0, 2, v0
	v_lshrrev_b32_e32 v17, 5, v9
	s_waitcnt lgkmcnt(0)
	v_add_co_u32 v4, s1, s4, v4
	s_delay_alu instid0(VALU_DEP_1) | instskip(SKIP_1) | instid1(VALU_DEP_3)
	v_add_co_ci_u32_e64 v14, null, s5, 0, s1
	v_add_co_u32 v2, s1, s6, v2
	v_add_co_u32 v13, vcc_lo, v4, v5
	v_lshrrev_b32_e32 v4, 5, v10
	v_and_b32_e32 v5, 0x7c, v3
	v_add_lshl_u32 v15, v17, v9, 2
	v_and_b32_e32 v19, 0x7c, v16
	v_and_b32_e32 v20, 0x7c, v17
	v_add_lshl_u32 v17, v3, v0, 2
	v_add_nc_u32_e32 v18, v5, v0
	v_and_b32_e32 v0, 0x7c, v4
	v_add_co_ci_u32_e64 v3, null, s7, 0, s1
	v_add_co_ci_u32_e32 v14, vcc_lo, 0, v14, vcc_lo
	v_add_co_u32 v22, vcc_lo, v2, v1
	v_lshlrev_b32_e32 v11, 2, v7
	v_add_lshl_u32 v12, v16, v8, 2
	v_add_lshl_u32 v16, v4, v10, 2
	v_add_nc_u32_e32 v19, v19, v8
	v_add_nc_u32_e32 v20, v20, v9
	;; [unrolled: 1-line block ×3, first 2 shown]
	v_add_co_ci_u32_e32 v23, vcc_lo, 0, v3, vcc_lo
	s_lshl_b32 s6, s0, 12
	s_sub_i32 s7, s2, s8
                                        ; implicit-def: $vgpr0_vgpr1_vgpr2_vgpr3
	s_branch .LBB0_5
.LBB0_4:                                ;   in Loop: Header=BB0_5 Depth=1
	s_or_b32 exec_lo, exec_lo, s0
	s_add_i32 s8, s8, s6
	s_sub_i32 s7, s7, s6
	s_cmp_ge_u32 s8, s10
	s_cbranch_scc1 .LBB0_61
.LBB0_5:                                ; =>This Inner Loop Header: Depth=1
	s_lshl_b64 s[0:1], s[8:9], 2
	s_min_u32 s2, s7, 0x1000
	v_add_co_u32 v4, vcc_lo, v13, s0
	v_add_co_ci_u32_e32 v5, vcc_lo, s1, v14, vcc_lo
	v_cmp_gt_u32_e32 vcc_lo, s2, v6
	s_waitcnt lgkmcnt(0)
	s_waitcnt_vscnt null, 0x0
	s_barrier
	buffer_gl0_inv
	s_and_saveexec_b32 s0, vcc_lo
	s_cbranch_execnz .LBB0_54
; %bb.6:                                ;   in Loop: Header=BB0_5 Depth=1
	s_or_b32 exec_lo, exec_lo, s0
	v_cmp_gt_u32_e64 s0, s2, v8
	s_delay_alu instid0(VALU_DEP_1)
	s_and_saveexec_b32 s1, s0
	s_cbranch_execnz .LBB0_55
.LBB0_7:                                ;   in Loop: Header=BB0_5 Depth=1
	s_or_b32 exec_lo, exec_lo, s1
	v_cmp_gt_u32_e64 s1, s2, v9
	s_delay_alu instid0(VALU_DEP_1)
	s_and_saveexec_b32 s3, s1
	s_cbranch_execnz .LBB0_56
.LBB0_8:                                ;   in Loop: Header=BB0_5 Depth=1
	s_or_b32 exec_lo, exec_lo, s3
	v_cmp_gt_u32_e64 s2, s2, v10
	s_delay_alu instid0(VALU_DEP_1)
	s_and_saveexec_b32 s3, s2
	s_cbranch_execz .LBB0_10
.LBB0_9:                                ;   in Loop: Header=BB0_5 Depth=1
	global_load_b32 v3, v[4:5], off offset:384
.LBB0_10:                               ;   in Loop: Header=BB0_5 Depth=1
	s_or_b32 exec_lo, exec_lo, s3
	s_waitcnt vmcnt(0)
	ds_store_b32 v11, v0
	ds_store_b32 v12, v1
	;; [unrolled: 1-line block ×4, first 2 shown]
	; wave barrier
	ds_load_2addr_b32 v[4:5], v25 offset0:32 offset1:159
	ds_load_2addr_b32 v[0:1], v17 offset1:1
	ds_load_2addr_b32 v[2:3], v17 offset0:2 offset1:3
	ds_load_b32 v27, v24 offset:22140
	s_mov_b32 s11, exec_lo
	v_mov_b32_e32 v32, -16
	s_waitcnt lgkmcnt(2)
	v_cmp_lt_f32_e64 s3, v5, v0
	s_delay_alu instid0(VALU_DEP_1) | instskip(SKIP_2) | instid1(VALU_DEP_3)
	v_cndmask_b32_e64 v33, 63, 0xbf, s3
	v_cndmask_b32_e64 v29, 0, 0x7f, s3
	v_cndmask_b32_e64 v36, -1.0, v5, s3
	v_lshlrev_b32_e32 v28, 2, v33
	ds_load_b32 v35, v28 offset:21120
	v_add_nc_u32_e32 v28, 0x5280, v28
	s_waitcnt lgkmcnt(0)
	v_cmp_lt_f32_e64 s4, v35, v0
	s_delay_alu instid0(VALU_DEP_1) | instskip(SKIP_2) | instid1(VALU_DEP_3)
	v_cndmask_b32_e64 v31, 0xffffffe0, 32, s4
	v_cndmask_b32_e64 v34, v29, v33, s4
	;; [unrolled: 1-line block ×3, first 2 shown]
	v_lshl_add_u32 v30, v31, 2, v28
	v_add_nc_u32_e32 v31, v31, v33
	ds_load_b32 v28, v30
	v_mov_b32_e32 v29, v31
	s_waitcnt lgkmcnt(0)
	v_cmpx_lt_f32_e32 v28, v0
; %bb.11:                               ;   in Loop: Header=BB0_5 Depth=1
	v_cndmask_b32_e64 v29, v5, 1.0, s3
	v_cndmask_b32_e64 v32, 0x7f, v26, s3
	v_mov_b32_e32 v34, v31
	v_mov_b32_e32 v36, v28
	s_delay_alu instid0(VALU_DEP_4) | instskip(NEXT) | instid1(VALU_DEP_4)
	v_cndmask_b32_e64 v35, v35, v29, s4
	v_cndmask_b32_e64 v29, v33, v32, s4
	v_mov_b32_e32 v32, 16
	s_delay_alu instid0(VALU_DEP_3)
	v_mov_b32_e32 v28, v35
; %bb.12:                               ;   in Loop: Header=BB0_5 Depth=1
	s_or_b32 exec_lo, exec_lo, s11
	s_delay_alu instid0(VALU_DEP_2)
	v_lshl_add_u32 v30, v32, 2, v30
	v_add_nc_u32_e32 v38, v32, v31
	s_mov_b32 s5, exec_lo
	ds_load_b32 v37, v30
	s_waitcnt lgkmcnt(0)
	v_cmp_lt_f32_e64 s3, v37, v0
	s_delay_alu instid0(VALU_DEP_1) | instskip(SKIP_1) | instid1(VALU_DEP_2)
	v_cndmask_b32_e64 v35, -8, 8, s3
	v_cndmask_b32_e64 v36, v36, v37, s3
	v_lshl_add_u32 v33, v35, 2, v30
	v_add_nc_u32_e32 v31, v35, v38
	v_mov_b32_e32 v35, -4
	v_cndmask_b32_e64 v34, v34, v38, s3
	ds_load_b32 v30, v33
	v_mov_b32_e32 v32, v31
	s_waitcnt lgkmcnt(0)
	v_cmpx_lt_f32_e32 v30, v0
; %bb.13:                               ;   in Loop: Header=BB0_5 Depth=1
	v_cndmask_b32_e64 v28, v37, v28, s3
	v_cndmask_b32_e64 v32, v38, v29, s3
	v_dual_mov_b32 v35, 4 :: v_dual_mov_b32 v34, v31
	v_mov_b32_e32 v36, v30
	s_delay_alu instid0(VALU_DEP_4)
	v_mov_b32_e32 v30, v28
; %bb.14:                               ;   in Loop: Header=BB0_5 Depth=1
	s_or_b32 exec_lo, exec_lo, s5
	s_delay_alu instid0(VALU_DEP_3)
	v_lshl_add_u32 v28, v35, 2, v33
	v_add_nc_u32_e32 v39, v35, v31
	v_mov_b32_e32 v37, -1
	s_mov_b32 s5, exec_lo
	ds_load_b32 v38, v28
	s_waitcnt lgkmcnt(0)
	v_cmp_lt_f32_e64 s3, v38, v0
	s_delay_alu instid0(VALU_DEP_1) | instskip(NEXT) | instid1(VALU_DEP_1)
	v_cndmask_b32_e64 v33, -2, 2, s3
	v_lshl_add_u32 v28, v33, 2, v28
	v_add_nc_u32_e32 v35, v33, v39
	v_cndmask_b32_e64 v33, v34, v39, s3
	v_cndmask_b32_e64 v34, v36, v38, s3
	ds_load_b32 v29, v28
	v_mov_b32_e32 v31, v35
	s_waitcnt lgkmcnt(0)
	v_cmpx_lt_f32_e32 v29, v0
; %bb.15:                               ;   in Loop: Header=BB0_5 Depth=1
	v_cndmask_b32_e64 v30, v38, v30, s3
	v_cndmask_b32_e64 v31, v39, v32, s3
	v_dual_mov_b32 v37, 1 :: v_dual_mov_b32 v34, v29
	v_mov_b32_e32 v33, v35
	s_delay_alu instid0(VALU_DEP_4)
	v_mov_b32_e32 v29, v30
; %bb.16:                               ;   in Loop: Header=BB0_5 Depth=1
	s_or_b32 exec_lo, exec_lo, s5
	s_delay_alu instid0(VALU_DEP_3)
	v_lshl_add_u32 v28, v37, 2, v28
	v_add_nc_u32_e32 v30, v37, v35
	s_mov_b32 s4, exec_lo
	ds_load_b32 v32, v28
                                        ; implicit-def: $vgpr28
	s_waitcnt lgkmcnt(0)
	v_cmpx_nlt_f32_e32 v32, v0
	s_xor_b32 s4, exec_lo, s4
; %bb.17:                               ;   in Loop: Header=BB0_5 Depth=1
	v_cmp_eq_u32_e64 s3, 0, v33
                                        ; implicit-def: $vgpr31
                                        ; implicit-def: $vgpr29
	s_delay_alu instid0(VALU_DEP_1) | instskip(NEXT) | instid1(VALU_DEP_1)
	v_cndmask_b32_e64 v28, v34, v4, s3
	v_add_f32_e32 v28, v32, v28
                                        ; implicit-def: $vgpr32
	s_delay_alu instid0(VALU_DEP_1) | instskip(NEXT) | instid1(VALU_DEP_1)
	v_mul_f32_e32 v28, 0.5, v28
	v_cmp_gt_f32_e64 s3, v28, v0
	s_delay_alu instid0(VALU_DEP_1)
	v_cndmask_b32_e64 v28, v30, v33, s3
                                        ; implicit-def: $vgpr30
; %bb.18:                               ;   in Loop: Header=BB0_5 Depth=1
	s_and_not1_saveexec_b32 s4, s4
; %bb.19:                               ;   in Loop: Header=BB0_5 Depth=1
	v_cmp_eq_u32_e64 s3, 0xff, v31
	s_delay_alu instid0(VALU_DEP_1) | instskip(NEXT) | instid1(VALU_DEP_1)
	v_cndmask_b32_e64 v28, v29, v27, s3
	v_add_f32_e32 v28, v32, v28
	s_delay_alu instid0(VALU_DEP_1) | instskip(NEXT) | instid1(VALU_DEP_1)
	v_mul_f32_e32 v28, 0.5, v28
	v_cmp_lt_f32_e64 s3, v28, v0
	s_delay_alu instid0(VALU_DEP_1)
	v_cndmask_b32_e64 v28, v30, v31, s3
; %bb.20:                               ;   in Loop: Header=BB0_5 Depth=1
	s_or_b32 exec_lo, exec_lo, s4
	v_cmp_lt_f32_e64 s3, v5, v1
	v_mov_b32_e32 v33, -16
	s_mov_b32 s11, exec_lo
	s_delay_alu instid0(VALU_DEP_2) | instskip(SKIP_2) | instid1(VALU_DEP_3)
	v_cndmask_b32_e64 v34, 63, 0xbf, s3
	v_cndmask_b32_e64 v30, 0, 0x7f, s3
	v_cndmask_b32_e64 v37, -1.0, v5, s3
	v_lshlrev_b32_e32 v29, 2, v34
	ds_load_b32 v36, v29 offset:21120
	v_add_nc_u32_e32 v29, 0x5280, v29
	s_waitcnt lgkmcnt(0)
	v_cmp_lt_f32_e64 s4, v36, v1
	s_delay_alu instid0(VALU_DEP_1) | instskip(SKIP_2) | instid1(VALU_DEP_3)
	v_cndmask_b32_e64 v31, 0xffffffe0, 32, s4
	v_cndmask_b32_e64 v35, v30, v34, s4
	;; [unrolled: 1-line block ×3, first 2 shown]
	v_lshl_add_u32 v32, v31, 2, v29
	v_add_nc_u32_e32 v31, v31, v34
	ds_load_b32 v29, v32
	v_mov_b32_e32 v30, v31
	s_waitcnt lgkmcnt(0)
	v_cmpx_lt_f32_e32 v29, v1
; %bb.21:                               ;   in Loop: Header=BB0_5 Depth=1
	v_cndmask_b32_e64 v30, v5, 1.0, s3
	v_cndmask_b32_e64 v33, 0x7f, v26, s3
	v_mov_b32_e32 v35, v31
	v_mov_b32_e32 v37, v29
	s_delay_alu instid0(VALU_DEP_4) | instskip(NEXT) | instid1(VALU_DEP_4)
	v_cndmask_b32_e64 v36, v36, v30, s4
	v_cndmask_b32_e64 v30, v34, v33, s4
	v_mov_b32_e32 v33, 16
	s_delay_alu instid0(VALU_DEP_3)
	v_mov_b32_e32 v29, v36
; %bb.22:                               ;   in Loop: Header=BB0_5 Depth=1
	s_or_b32 exec_lo, exec_lo, s11
	s_delay_alu instid0(VALU_DEP_2)
	v_lshl_add_u32 v32, v33, 2, v32
	v_add_nc_u32_e32 v39, v33, v31
	s_mov_b32 s5, exec_lo
	ds_load_b32 v38, v32
	s_waitcnt lgkmcnt(0)
	v_cmp_lt_f32_e64 s3, v38, v1
	s_delay_alu instid0(VALU_DEP_1) | instskip(SKIP_1) | instid1(VALU_DEP_2)
	v_cndmask_b32_e64 v36, -8, 8, s3
	v_cndmask_b32_e64 v37, v37, v38, s3
	v_lshl_add_u32 v34, v36, 2, v32
	v_dual_mov_b32 v36, -4 :: v_dual_add_nc_u32 v31, v36, v39
	v_cndmask_b32_e64 v35, v35, v39, s3
	ds_load_b32 v32, v34
	v_mov_b32_e32 v33, v31
	s_waitcnt lgkmcnt(0)
	v_cmpx_lt_f32_e32 v32, v1
; %bb.23:                               ;   in Loop: Header=BB0_5 Depth=1
	v_cndmask_b32_e64 v29, v38, v29, s3
	v_cndmask_b32_e64 v33, v39, v30, s3
	v_dual_mov_b32 v36, 4 :: v_dual_mov_b32 v35, v31
	s_delay_alu instid0(VALU_DEP_3)
	v_dual_mov_b32 v37, v32 :: v_dual_mov_b32 v32, v29
; %bb.24:                               ;   in Loop: Header=BB0_5 Depth=1
	s_or_b32 exec_lo, exec_lo, s5
	s_delay_alu instid0(VALU_DEP_2)
	v_lshl_add_u32 v29, v36, 2, v34
	v_add_nc_u32_e32 v40, v36, v31
	s_mov_b32 s5, exec_lo
	ds_load_b32 v39, v29
	s_waitcnt lgkmcnt(0)
	v_cmp_lt_f32_e64 s3, v39, v1
	s_delay_alu instid0(VALU_DEP_1) | instskip(NEXT) | instid1(VALU_DEP_1)
	v_cndmask_b32_e64 v34, -2, 2, s3
	v_lshl_add_u32 v29, v34, 2, v29
	v_add_nc_u32_e32 v36, v34, v40
	v_mov_b32_e32 v38, -1
	v_cndmask_b32_e64 v34, v35, v40, s3
	v_cndmask_b32_e64 v35, v37, v39, s3
	ds_load_b32 v30, v29
	v_mov_b32_e32 v31, v36
	s_waitcnt lgkmcnt(0)
	v_cmpx_lt_f32_e32 v30, v1
; %bb.25:                               ;   in Loop: Header=BB0_5 Depth=1
	v_cndmask_b32_e64 v32, v39, v32, s3
	v_cndmask_b32_e64 v31, v40, v33, s3
	v_dual_mov_b32 v38, 1 :: v_dual_mov_b32 v35, v30
	v_mov_b32_e32 v34, v36
	s_delay_alu instid0(VALU_DEP_4)
	v_mov_b32_e32 v30, v32
; %bb.26:                               ;   in Loop: Header=BB0_5 Depth=1
	s_or_b32 exec_lo, exec_lo, s5
	s_delay_alu instid0(VALU_DEP_3)
	v_lshl_add_u32 v29, v38, 2, v29
	v_add_nc_u32_e32 v32, v38, v36
	s_mov_b32 s4, exec_lo
	ds_load_b32 v33, v29
                                        ; implicit-def: $vgpr29
	s_waitcnt lgkmcnt(0)
	v_cmpx_nlt_f32_e32 v33, v1
	s_xor_b32 s4, exec_lo, s4
; %bb.27:                               ;   in Loop: Header=BB0_5 Depth=1
	v_cmp_eq_u32_e64 s3, 0, v34
                                        ; implicit-def: $vgpr31
                                        ; implicit-def: $vgpr30
	s_delay_alu instid0(VALU_DEP_1) | instskip(NEXT) | instid1(VALU_DEP_1)
	v_cndmask_b32_e64 v29, v35, v4, s3
	v_add_f32_e32 v29, v33, v29
                                        ; implicit-def: $vgpr33
	s_delay_alu instid0(VALU_DEP_1) | instskip(NEXT) | instid1(VALU_DEP_1)
	v_mul_f32_e32 v29, 0.5, v29
	v_cmp_gt_f32_e64 s3, v29, v1
	s_delay_alu instid0(VALU_DEP_1)
	v_cndmask_b32_e64 v29, v32, v34, s3
                                        ; implicit-def: $vgpr32
; %bb.28:                               ;   in Loop: Header=BB0_5 Depth=1
	s_and_not1_saveexec_b32 s4, s4
; %bb.29:                               ;   in Loop: Header=BB0_5 Depth=1
	v_cmp_eq_u32_e64 s3, 0xff, v31
	s_delay_alu instid0(VALU_DEP_1) | instskip(NEXT) | instid1(VALU_DEP_1)
	v_cndmask_b32_e64 v29, v30, v27, s3
	v_add_f32_e32 v29, v33, v29
	s_delay_alu instid0(VALU_DEP_1) | instskip(NEXT) | instid1(VALU_DEP_1)
	v_mul_f32_e32 v29, 0.5, v29
	v_cmp_lt_f32_e64 s3, v29, v1
	s_delay_alu instid0(VALU_DEP_1)
	v_cndmask_b32_e64 v29, v32, v31, s3
; %bb.30:                               ;   in Loop: Header=BB0_5 Depth=1
	s_or_b32 exec_lo, exec_lo, s4
	v_cmp_lt_f32_e64 s3, v5, v2
	s_mov_b32 s11, exec_lo
	v_mov_b32_e32 v34, -16
	s_delay_alu instid0(VALU_DEP_2) | instskip(SKIP_2) | instid1(VALU_DEP_3)
	v_cndmask_b32_e64 v35, 63, 0xbf, s3
	v_cndmask_b32_e64 v31, 0, 0x7f, s3
	v_cndmask_b32_e64 v38, -1.0, v5, s3
	v_lshlrev_b32_e32 v30, 2, v35
	ds_load_b32 v37, v30 offset:21120
	v_add_nc_u32_e32 v30, 0x5280, v30
	s_waitcnt lgkmcnt(0)
	v_cmp_lt_f32_e64 s4, v37, v2
	s_delay_alu instid0(VALU_DEP_1) | instskip(SKIP_2) | instid1(VALU_DEP_3)
	v_cndmask_b32_e64 v33, 0xffffffe0, 32, s4
	v_cndmask_b32_e64 v36, v31, v35, s4
	;; [unrolled: 1-line block ×3, first 2 shown]
	v_lshl_add_u32 v32, v33, 2, v30
	v_add_nc_u32_e32 v33, v33, v35
	ds_load_b32 v30, v32
	v_mov_b32_e32 v31, v33
	s_waitcnt lgkmcnt(0)
	v_cmpx_lt_f32_e32 v30, v2
; %bb.31:                               ;   in Loop: Header=BB0_5 Depth=1
	v_cndmask_b32_e64 v31, v5, 1.0, s3
	v_cndmask_b32_e64 v34, 0x7f, v26, s3
	v_mov_b32_e32 v36, v33
	v_mov_b32_e32 v38, v30
	s_delay_alu instid0(VALU_DEP_4) | instskip(NEXT) | instid1(VALU_DEP_4)
	v_cndmask_b32_e64 v37, v37, v31, s4
	v_cndmask_b32_e64 v31, v35, v34, s4
	v_mov_b32_e32 v34, 16
	s_delay_alu instid0(VALU_DEP_3)
	v_mov_b32_e32 v30, v37
; %bb.32:                               ;   in Loop: Header=BB0_5 Depth=1
	s_or_b32 exec_lo, exec_lo, s11
	s_delay_alu instid0(VALU_DEP_2)
	v_lshl_add_u32 v32, v34, 2, v32
	v_add_nc_u32_e32 v40, v34, v33
	s_mov_b32 s5, exec_lo
	ds_load_b32 v39, v32
	s_waitcnt lgkmcnt(0)
	v_cmp_lt_f32_e64 s3, v39, v2
	s_delay_alu instid0(VALU_DEP_1) | instskip(SKIP_1) | instid1(VALU_DEP_2)
	v_cndmask_b32_e64 v37, -8, 8, s3
	v_cndmask_b32_e64 v38, v38, v39, s3
	v_lshl_add_u32 v35, v37, 2, v32
	v_add_nc_u32_e32 v33, v37, v40
	v_mov_b32_e32 v37, -4
	v_cndmask_b32_e64 v36, v36, v40, s3
	ds_load_b32 v32, v35
	v_mov_b32_e32 v34, v33
	s_waitcnt lgkmcnt(0)
	v_cmpx_lt_f32_e32 v32, v2
; %bb.33:                               ;   in Loop: Header=BB0_5 Depth=1
	v_cndmask_b32_e64 v30, v39, v30, s3
	v_cndmask_b32_e64 v34, v40, v31, s3
	v_dual_mov_b32 v37, 4 :: v_dual_mov_b32 v36, v33
	v_mov_b32_e32 v38, v32
	s_delay_alu instid0(VALU_DEP_4)
	v_mov_b32_e32 v32, v30
; %bb.34:                               ;   in Loop: Header=BB0_5 Depth=1
	s_or_b32 exec_lo, exec_lo, s5
	s_delay_alu instid0(VALU_DEP_3)
	v_lshl_add_u32 v30, v37, 2, v35
	v_add_nc_u32_e32 v41, v37, v33
	v_mov_b32_e32 v39, -1
	s_mov_b32 s5, exec_lo
	ds_load_b32 v40, v30
	s_waitcnt lgkmcnt(0)
	v_cmp_lt_f32_e64 s3, v40, v2
	s_delay_alu instid0(VALU_DEP_1) | instskip(NEXT) | instid1(VALU_DEP_1)
	v_cndmask_b32_e64 v35, -2, 2, s3
	v_lshl_add_u32 v30, v35, 2, v30
	v_add_nc_u32_e32 v37, v35, v41
	v_cndmask_b32_e64 v35, v36, v41, s3
	v_cndmask_b32_e64 v36, v38, v40, s3
	ds_load_b32 v31, v30
	v_mov_b32_e32 v33, v37
	s_waitcnt lgkmcnt(0)
	v_cmpx_lt_f32_e32 v31, v2
; %bb.35:                               ;   in Loop: Header=BB0_5 Depth=1
	v_cndmask_b32_e64 v32, v40, v32, s3
	v_cndmask_b32_e64 v33, v41, v34, s3
	v_dual_mov_b32 v39, 1 :: v_dual_mov_b32 v36, v31
	v_mov_b32_e32 v35, v37
	s_delay_alu instid0(VALU_DEP_4)
	v_mov_b32_e32 v31, v32
; %bb.36:                               ;   in Loop: Header=BB0_5 Depth=1
	s_or_b32 exec_lo, exec_lo, s5
	s_delay_alu instid0(VALU_DEP_3)
	v_lshl_add_u32 v30, v39, 2, v30
	v_add_nc_u32_e32 v32, v39, v37
	s_mov_b32 s4, exec_lo
	ds_load_b32 v34, v30
                                        ; implicit-def: $vgpr30
	s_waitcnt lgkmcnt(0)
	v_cmpx_nlt_f32_e32 v34, v2
	s_xor_b32 s4, exec_lo, s4
; %bb.37:                               ;   in Loop: Header=BB0_5 Depth=1
	v_cmp_eq_u32_e64 s3, 0, v35
                                        ; implicit-def: $vgpr33
                                        ; implicit-def: $vgpr31
	s_delay_alu instid0(VALU_DEP_1) | instskip(NEXT) | instid1(VALU_DEP_1)
	v_cndmask_b32_e64 v30, v36, v4, s3
	v_add_f32_e32 v30, v34, v30
                                        ; implicit-def: $vgpr34
	s_delay_alu instid0(VALU_DEP_1) | instskip(NEXT) | instid1(VALU_DEP_1)
	v_mul_f32_e32 v30, 0.5, v30
	v_cmp_gt_f32_e64 s3, v30, v2
	s_delay_alu instid0(VALU_DEP_1)
	v_cndmask_b32_e64 v30, v32, v35, s3
                                        ; implicit-def: $vgpr32
; %bb.38:                               ;   in Loop: Header=BB0_5 Depth=1
	s_and_not1_saveexec_b32 s4, s4
; %bb.39:                               ;   in Loop: Header=BB0_5 Depth=1
	v_cmp_eq_u32_e64 s3, 0xff, v33
	s_delay_alu instid0(VALU_DEP_1) | instskip(NEXT) | instid1(VALU_DEP_1)
	v_cndmask_b32_e64 v30, v31, v27, s3
	v_add_f32_e32 v30, v34, v30
	s_delay_alu instid0(VALU_DEP_1) | instskip(NEXT) | instid1(VALU_DEP_1)
	v_mul_f32_e32 v30, 0.5, v30
	v_cmp_lt_f32_e64 s3, v30, v2
	s_delay_alu instid0(VALU_DEP_1)
	v_cndmask_b32_e64 v30, v32, v33, s3
; %bb.40:                               ;   in Loop: Header=BB0_5 Depth=1
	s_or_b32 exec_lo, exec_lo, s4
	v_cmp_lt_f32_e64 s3, v5, v3
	s_mov_b32 s11, exec_lo
	v_mov_b32_e32 v35, -16
	s_delay_alu instid0(VALU_DEP_2) | instskip(SKIP_2) | instid1(VALU_DEP_3)
	v_cndmask_b32_e64 v37, 63, 0xbf, s3
	v_cndmask_b32_e64 v33, 0, 0x7f, s3
	v_cndmask_b32_e64 v39, -1.0, v5, s3
	v_lshlrev_b32_e32 v31, 2, v37
	ds_load_b32 v38, v31 offset:21120
	v_add_nc_u32_e32 v31, 0x5280, v31
	s_waitcnt lgkmcnt(0)
	v_cmp_lt_f32_e64 s4, v38, v3
	s_delay_alu instid0(VALU_DEP_1) | instskip(SKIP_2) | instid1(VALU_DEP_3)
	v_cndmask_b32_e64 v34, 0xffffffe0, 32, s4
	v_cndmask_b32_e64 v36, v33, v37, s4
	v_cndmask_b32_e64 v39, v39, v38, s4
	v_lshl_add_u32 v32, v34, 2, v31
	v_add_nc_u32_e32 v34, v34, v37
	ds_load_b32 v31, v32
	v_mov_b32_e32 v33, v34
	s_waitcnt lgkmcnt(0)
	v_cmpx_lt_f32_e32 v31, v3
; %bb.41:                               ;   in Loop: Header=BB0_5 Depth=1
	v_cndmask_b32_e64 v5, v5, 1.0, s3
	v_cndmask_b32_e64 v33, 0x7f, v26, s3
	v_dual_mov_b32 v35, 16 :: v_dual_mov_b32 v36, v34
	v_mov_b32_e32 v39, v31
	s_delay_alu instid0(VALU_DEP_4) | instskip(NEXT) | instid1(VALU_DEP_4)
	v_cndmask_b32_e64 v5, v38, v5, s4
	v_cndmask_b32_e64 v33, v37, v33, s4
	s_delay_alu instid0(VALU_DEP_2)
	v_mov_b32_e32 v31, v5
; %bb.42:                               ;   in Loop: Header=BB0_5 Depth=1
	s_or_b32 exec_lo, exec_lo, s11
	v_lshl_add_u32 v5, v35, 2, v32
	v_add_nc_u32_e32 v41, v35, v34
	s_mov_b32 s5, exec_lo
	ds_load_b32 v40, v5
	s_waitcnt lgkmcnt(0)
	v_cmp_lt_f32_e64 s3, v40, v3
	s_delay_alu instid0(VALU_DEP_1) | instskip(SKIP_2) | instid1(VALU_DEP_3)
	v_cndmask_b32_e64 v37, -8, 8, s3
	v_cndmask_b32_e64 v38, v36, v41, s3
	v_cndmask_b32_e64 v39, v39, v40, s3
	v_lshl_add_u32 v5, v37, 2, v5
	v_add_nc_u32_e32 v35, v37, v41
	v_mov_b32_e32 v37, -4
	ds_load_b32 v32, v5
	v_mov_b32_e32 v34, v35
	s_waitcnt lgkmcnt(0)
	v_cmpx_lt_f32_e32 v32, v3
; %bb.43:                               ;   in Loop: Header=BB0_5 Depth=1
	v_cndmask_b32_e64 v31, v40, v31, s3
	v_cndmask_b32_e64 v34, v41, v33, s3
	v_dual_mov_b32 v37, 4 :: v_dual_mov_b32 v38, v35
	s_delay_alu instid0(VALU_DEP_3)
	v_dual_mov_b32 v39, v32 :: v_dual_mov_b32 v32, v31
; %bb.44:                               ;   in Loop: Header=BB0_5 Depth=1
	s_or_b32 exec_lo, exec_lo, s5
	s_delay_alu instid0(VALU_DEP_2)
	v_lshl_add_u32 v5, v37, 2, v5
	v_add_nc_u32_e32 v42, v37, v35
	s_mov_b32 s5, exec_lo
	v_mov_b32_e32 v40, -1
	ds_load_b32 v41, v5
	s_waitcnt lgkmcnt(0)
	v_cmp_lt_f32_e64 s3, v41, v3
	s_delay_alu instid0(VALU_DEP_1) | instskip(SKIP_2) | instid1(VALU_DEP_3)
	v_cndmask_b32_e64 v31, -2, 2, s3
	v_cndmask_b32_e64 v33, v38, v42, s3
	v_cndmask_b32_e64 v35, v39, v41, s3
	v_lshl_add_u32 v36, v31, 2, v5
	v_add_nc_u32_e32 v37, v31, v42
	ds_load_b32 v5, v36
	v_mov_b32_e32 v31, v37
	s_waitcnt lgkmcnt(0)
	v_cmpx_lt_f32_e32 v5, v3
; %bb.45:                               ;   in Loop: Header=BB0_5 Depth=1
	v_cndmask_b32_e64 v32, v41, v32, s3
	v_cndmask_b32_e64 v31, v42, v34, s3
	v_dual_mov_b32 v40, 1 :: v_dual_mov_b32 v33, v37
	v_mov_b32_e32 v35, v5
	s_delay_alu instid0(VALU_DEP_4)
	v_mov_b32_e32 v5, v32
; %bb.46:                               ;   in Loop: Header=BB0_5 Depth=1
	s_or_b32 exec_lo, exec_lo, s5
	s_delay_alu instid0(VALU_DEP_3)
	v_lshl_add_u32 v32, v40, 2, v36
	v_add_nc_u32_e32 v34, v40, v37
	s_mov_b32 s4, exec_lo
	ds_load_b32 v36, v32
                                        ; implicit-def: $vgpr32
	s_waitcnt lgkmcnt(0)
	v_cmpx_nlt_f32_e32 v36, v3
	s_xor_b32 s4, exec_lo, s4
; %bb.47:                               ;   in Loop: Header=BB0_5 Depth=1
	v_cmp_eq_u32_e64 s3, 0, v33
                                        ; implicit-def: $vgpr31
                                        ; implicit-def: $vgpr5
                                        ; implicit-def: $vgpr27
	s_delay_alu instid0(VALU_DEP_1) | instskip(NEXT) | instid1(VALU_DEP_1)
	v_cndmask_b32_e64 v4, v35, v4, s3
	v_add_f32_e32 v4, v36, v4
                                        ; implicit-def: $vgpr36
	s_delay_alu instid0(VALU_DEP_1) | instskip(NEXT) | instid1(VALU_DEP_1)
	v_mul_f32_e32 v4, 0.5, v4
	v_cmp_gt_f32_e64 s3, v4, v3
	s_delay_alu instid0(VALU_DEP_1)
	v_cndmask_b32_e64 v32, v34, v33, s3
                                        ; implicit-def: $vgpr34
; %bb.48:                               ;   in Loop: Header=BB0_5 Depth=1
	s_and_not1_saveexec_b32 s4, s4
; %bb.49:                               ;   in Loop: Header=BB0_5 Depth=1
	v_cmp_eq_u32_e64 s3, 0xff, v31
	s_delay_alu instid0(VALU_DEP_1) | instskip(NEXT) | instid1(VALU_DEP_1)
	v_cndmask_b32_e64 v4, v5, v27, s3
	v_add_f32_e32 v4, v36, v4
	s_delay_alu instid0(VALU_DEP_1) | instskip(NEXT) | instid1(VALU_DEP_1)
	v_mul_f32_e32 v4, 0.5, v4
	v_cmp_lt_f32_e64 s3, v4, v3
	s_delay_alu instid0(VALU_DEP_1)
	v_cndmask_b32_e64 v32, v34, v31, s3
; %bb.50:                               ;   in Loop: Header=BB0_5 Depth=1
	s_or_b32 exec_lo, exec_lo, s4
	s_barrier
	buffer_gl0_inv
	ds_store_b8 v18, v28 offset:16896
	ds_store_b8 v18, v29 offset:16897
	;; [unrolled: 1-line block ×4, first 2 shown]
	; wave barrier
	ds_load_u8 v29, v19 offset:16896
	ds_load_u8 v28, v20 offset:16896
	;; [unrolled: 1-line block ×3, first 2 shown]
	v_add_co_u32 v4, s3, v22, s8
	s_delay_alu instid0(VALU_DEP_1) | instskip(SKIP_1) | instid1(SALU_CYCLE_1)
	v_add_co_ci_u32_e64 v5, s3, 0, v23, s3
	s_and_saveexec_b32 s3, vcc_lo
	s_xor_b32 s3, exec_lo, s3
	s_cbranch_execnz .LBB0_57
; %bb.51:                               ;   in Loop: Header=BB0_5 Depth=1
	s_or_b32 exec_lo, exec_lo, s3
	s_and_saveexec_b32 s3, s0
	s_cbranch_execnz .LBB0_58
.LBB0_52:                               ;   in Loop: Header=BB0_5 Depth=1
	s_or_b32 exec_lo, exec_lo, s3
	s_and_saveexec_b32 s0, s1
	s_cbranch_execnz .LBB0_59
.LBB0_53:                               ;   in Loop: Header=BB0_5 Depth=1
	s_or_b32 exec_lo, exec_lo, s0
	s_and_saveexec_b32 s0, s2
	s_cbranch_execz .LBB0_4
	s_branch .LBB0_60
.LBB0_54:                               ;   in Loop: Header=BB0_5 Depth=1
	global_load_b32 v0, v[4:5], off
	s_or_b32 exec_lo, exec_lo, s0
	v_cmp_gt_u32_e64 s0, s2, v8
	s_delay_alu instid0(VALU_DEP_1)
	s_and_saveexec_b32 s1, s0
	s_cbranch_execz .LBB0_7
.LBB0_55:                               ;   in Loop: Header=BB0_5 Depth=1
	global_load_b32 v1, v[4:5], off offset:128
	s_or_b32 exec_lo, exec_lo, s1
	v_cmp_gt_u32_e64 s1, s2, v9
	s_delay_alu instid0(VALU_DEP_1)
	s_and_saveexec_b32 s3, s1
	s_cbranch_execz .LBB0_8
.LBB0_56:                               ;   in Loop: Header=BB0_5 Depth=1
	global_load_b32 v2, v[4:5], off offset:256
	s_or_b32 exec_lo, exec_lo, s3
	v_cmp_gt_u32_e64 s2, s2, v10
	s_delay_alu instid0(VALU_DEP_1)
	s_and_saveexec_b32 s3, s2
	s_cbranch_execnz .LBB0_9
	s_branch .LBB0_10
.LBB0_57:                               ;   in Loop: Header=BB0_5 Depth=1
	ds_load_u8 v30, v7 offset:16896
	s_waitcnt lgkmcnt(0)
	global_store_b8 v[4:5], v30, off
	s_or_b32 exec_lo, exec_lo, s3
	s_and_saveexec_b32 s3, s0
	s_cbranch_execz .LBB0_52
.LBB0_58:                               ;   in Loop: Header=BB0_5 Depth=1
	s_waitcnt lgkmcnt(2)
	global_store_b8 v[4:5], v29, off offset:32
	s_or_b32 exec_lo, exec_lo, s3
	s_and_saveexec_b32 s0, s1
	s_cbranch_execz .LBB0_53
.LBB0_59:                               ;   in Loop: Header=BB0_5 Depth=1
	s_waitcnt lgkmcnt(1)
	global_store_b8 v[4:5], v28, off offset:64
	s_or_b32 exec_lo, exec_lo, s0
	s_and_saveexec_b32 s0, s2
	s_cbranch_execz .LBB0_4
.LBB0_60:                               ;   in Loop: Header=BB0_5 Depth=1
	s_waitcnt lgkmcnt(0)
	global_store_b8 v[4:5], v27, off offset:96
	s_branch .LBB0_4
.LBB0_61:
	s_nop 0
	s_sendmsg sendmsg(MSG_DEALLOC_VGPRS)
	s_endpgm
	.section	.rodata,"a",@progbits
	.p2align	6, 0x0
	.amdhsa_kernel _Z9kQuantizePfS_Phi
		.amdhsa_group_segment_fixed_size 22144
		.amdhsa_private_segment_fixed_size 0
		.amdhsa_kernarg_size 288
		.amdhsa_user_sgpr_count 15
		.amdhsa_user_sgpr_dispatch_ptr 0
		.amdhsa_user_sgpr_queue_ptr 0
		.amdhsa_user_sgpr_kernarg_segment_ptr 1
		.amdhsa_user_sgpr_dispatch_id 0
		.amdhsa_user_sgpr_private_segment_size 0
		.amdhsa_wavefront_size32 1
		.amdhsa_uses_dynamic_stack 0
		.amdhsa_enable_private_segment 0
		.amdhsa_system_sgpr_workgroup_id_x 1
		.amdhsa_system_sgpr_workgroup_id_y 0
		.amdhsa_system_sgpr_workgroup_id_z 0
		.amdhsa_system_sgpr_workgroup_info 0
		.amdhsa_system_vgpr_workitem_id 0
		.amdhsa_next_free_vgpr 43
		.amdhsa_next_free_sgpr 16
		.amdhsa_reserve_vcc 1
		.amdhsa_float_round_mode_32 0
		.amdhsa_float_round_mode_16_64 0
		.amdhsa_float_denorm_mode_32 3
		.amdhsa_float_denorm_mode_16_64 3
		.amdhsa_dx10_clamp 1
		.amdhsa_ieee_mode 1
		.amdhsa_fp16_overflow 0
		.amdhsa_workgroup_processor_mode 1
		.amdhsa_memory_ordered 1
		.amdhsa_forward_progress 0
		.amdhsa_shared_vgpr_count 0
		.amdhsa_exception_fp_ieee_invalid_op 0
		.amdhsa_exception_fp_denorm_src 0
		.amdhsa_exception_fp_ieee_div_zero 0
		.amdhsa_exception_fp_ieee_overflow 0
		.amdhsa_exception_fp_ieee_underflow 0
		.amdhsa_exception_fp_ieee_inexact 0
		.amdhsa_exception_int_div_zero 0
	.end_amdhsa_kernel
	.text
.Lfunc_end0:
	.size	_Z9kQuantizePfS_Phi, .Lfunc_end0-_Z9kQuantizePfS_Phi
                                        ; -- End function
	.section	.AMDGPU.csdata,"",@progbits
; Kernel info:
; codeLenInByte = 3644
; NumSgprs: 18
; NumVgprs: 43
; ScratchSize: 0
; MemoryBound: 0
; FloatMode: 240
; IeeeMode: 1
; LDSByteSize: 22144 bytes/workgroup (compile time only)
; SGPRBlocks: 2
; VGPRBlocks: 5
; NumSGPRsForWavesPerEU: 18
; NumVGPRsForWavesPerEU: 43
; Occupancy: 16
; WaveLimiterHint : 0
; COMPUTE_PGM_RSRC2:SCRATCH_EN: 0
; COMPUTE_PGM_RSRC2:USER_SGPR: 15
; COMPUTE_PGM_RSRC2:TRAP_HANDLER: 0
; COMPUTE_PGM_RSRC2:TGID_X_EN: 1
; COMPUTE_PGM_RSRC2:TGID_Y_EN: 0
; COMPUTE_PGM_RSRC2:TGID_Z_EN: 0
; COMPUTE_PGM_RSRC2:TIDIG_COMP_CNT: 0
	.text
